;; amdgpu-corpus repo=ROCm/rocFFT kind=compiled arch=gfx1201 opt=O3
	.text
	.amdgcn_target "amdgcn-amd-amdhsa--gfx1201"
	.amdhsa_code_object_version 6
	.protected	fft_rtc_back_len1848_factors_3_11_7_4_2_wgs_231_tpt_231_halfLds_dp_ip_CI_unitstride_sbrr_R2C_dirReg ; -- Begin function fft_rtc_back_len1848_factors_3_11_7_4_2_wgs_231_tpt_231_halfLds_dp_ip_CI_unitstride_sbrr_R2C_dirReg
	.globl	fft_rtc_back_len1848_factors_3_11_7_4_2_wgs_231_tpt_231_halfLds_dp_ip_CI_unitstride_sbrr_R2C_dirReg
	.p2align	8
	.type	fft_rtc_back_len1848_factors_3_11_7_4_2_wgs_231_tpt_231_halfLds_dp_ip_CI_unitstride_sbrr_R2C_dirReg,@function
fft_rtc_back_len1848_factors_3_11_7_4_2_wgs_231_tpt_231_halfLds_dp_ip_CI_unitstride_sbrr_R2C_dirReg: ; @fft_rtc_back_len1848_factors_3_11_7_4_2_wgs_231_tpt_231_halfLds_dp_ip_CI_unitstride_sbrr_R2C_dirReg
; %bb.0:
	s_clause 0x2
	s_load_b128 s[4:7], s[0:1], 0x0
	s_load_b64 s[8:9], s[0:1], 0x50
	s_load_b64 s[10:11], s[0:1], 0x18
	v_mul_u32_u24_e32 v1, 0x11c, v0
	v_mov_b32_e32 v3, 0
	s_delay_alu instid0(VALU_DEP_2) | instskip(NEXT) | instid1(VALU_DEP_1)
	v_lshrrev_b32_e32 v1, 16, v1
	v_add_nc_u32_e32 v5, ttmp9, v1
	v_mov_b32_e32 v1, 0
	v_mov_b32_e32 v2, 0
	;; [unrolled: 1-line block ×3, first 2 shown]
	s_wait_kmcnt 0x0
	v_cmp_lt_u64_e64 s2, s[6:7], 2
	s_delay_alu instid0(VALU_DEP_1)
	s_and_b32 vcc_lo, exec_lo, s2
	s_cbranch_vccnz .LBB0_8
; %bb.1:
	s_load_b64 s[2:3], s[0:1], 0x10
	v_mov_b32_e32 v1, 0
	v_mov_b32_e32 v2, 0
	s_add_nc_u64 s[12:13], s[10:11], 8
	s_mov_b64 s[14:15], 1
	s_wait_kmcnt 0x0
	s_add_nc_u64 s[16:17], s[2:3], 8
	s_mov_b32 s3, 0
.LBB0_2:                                ; =>This Inner Loop Header: Depth=1
	s_load_b64 s[18:19], s[16:17], 0x0
                                        ; implicit-def: $vgpr7_vgpr8
	s_mov_b32 s2, exec_lo
	s_wait_kmcnt 0x0
	v_or_b32_e32 v4, s19, v6
	s_delay_alu instid0(VALU_DEP_1)
	v_cmpx_ne_u64_e32 0, v[3:4]
	s_wait_alu 0xfffe
	s_xor_b32 s20, exec_lo, s2
	s_cbranch_execz .LBB0_4
; %bb.3:                                ;   in Loop: Header=BB0_2 Depth=1
	s_cvt_f32_u32 s2, s18
	s_cvt_f32_u32 s21, s19
	s_sub_nc_u64 s[24:25], 0, s[18:19]
	s_wait_alu 0xfffe
	s_delay_alu instid0(SALU_CYCLE_1) | instskip(SKIP_1) | instid1(SALU_CYCLE_2)
	s_fmamk_f32 s2, s21, 0x4f800000, s2
	s_wait_alu 0xfffe
	v_s_rcp_f32 s2, s2
	s_delay_alu instid0(TRANS32_DEP_1) | instskip(SKIP_1) | instid1(SALU_CYCLE_2)
	s_mul_f32 s2, s2, 0x5f7ffffc
	s_wait_alu 0xfffe
	s_mul_f32 s21, s2, 0x2f800000
	s_wait_alu 0xfffe
	s_delay_alu instid0(SALU_CYCLE_2) | instskip(SKIP_1) | instid1(SALU_CYCLE_2)
	s_trunc_f32 s21, s21
	s_wait_alu 0xfffe
	s_fmamk_f32 s2, s21, 0xcf800000, s2
	s_cvt_u32_f32 s23, s21
	s_wait_alu 0xfffe
	s_delay_alu instid0(SALU_CYCLE_1) | instskip(SKIP_1) | instid1(SALU_CYCLE_2)
	s_cvt_u32_f32 s22, s2
	s_wait_alu 0xfffe
	s_mul_u64 s[26:27], s[24:25], s[22:23]
	s_wait_alu 0xfffe
	s_mul_hi_u32 s29, s22, s27
	s_mul_i32 s28, s22, s27
	s_mul_hi_u32 s2, s22, s26
	s_mul_i32 s30, s23, s26
	s_wait_alu 0xfffe
	s_add_nc_u64 s[28:29], s[2:3], s[28:29]
	s_mul_hi_u32 s21, s23, s26
	s_mul_hi_u32 s31, s23, s27
	s_add_co_u32 s2, s28, s30
	s_wait_alu 0xfffe
	s_add_co_ci_u32 s2, s29, s21
	s_mul_i32 s26, s23, s27
	s_add_co_ci_u32 s27, s31, 0
	s_wait_alu 0xfffe
	s_add_nc_u64 s[26:27], s[2:3], s[26:27]
	s_wait_alu 0xfffe
	v_add_co_u32 v4, s2, s22, s26
	s_delay_alu instid0(VALU_DEP_1) | instskip(SKIP_1) | instid1(VALU_DEP_1)
	s_cmp_lg_u32 s2, 0
	s_add_co_ci_u32 s23, s23, s27
	v_readfirstlane_b32 s22, v4
	s_wait_alu 0xfffe
	s_delay_alu instid0(VALU_DEP_1)
	s_mul_u64 s[24:25], s[24:25], s[22:23]
	s_wait_alu 0xfffe
	s_mul_hi_u32 s27, s22, s25
	s_mul_i32 s26, s22, s25
	s_mul_hi_u32 s2, s22, s24
	s_mul_i32 s28, s23, s24
	s_wait_alu 0xfffe
	s_add_nc_u64 s[26:27], s[2:3], s[26:27]
	s_mul_hi_u32 s21, s23, s24
	s_mul_hi_u32 s22, s23, s25
	s_wait_alu 0xfffe
	s_add_co_u32 s2, s26, s28
	s_add_co_ci_u32 s2, s27, s21
	s_mul_i32 s24, s23, s25
	s_add_co_ci_u32 s25, s22, 0
	s_wait_alu 0xfffe
	s_add_nc_u64 s[24:25], s[2:3], s[24:25]
	s_wait_alu 0xfffe
	v_add_co_u32 v4, s2, v4, s24
	s_delay_alu instid0(VALU_DEP_1) | instskip(SKIP_1) | instid1(VALU_DEP_1)
	s_cmp_lg_u32 s2, 0
	s_add_co_ci_u32 s2, s23, s25
	v_mul_hi_u32 v13, v5, v4
	s_wait_alu 0xfffe
	v_mad_co_u64_u32 v[7:8], null, v5, s2, 0
	v_mad_co_u64_u32 v[9:10], null, v6, v4, 0
	;; [unrolled: 1-line block ×3, first 2 shown]
	s_delay_alu instid0(VALU_DEP_3) | instskip(SKIP_1) | instid1(VALU_DEP_4)
	v_add_co_u32 v4, vcc_lo, v13, v7
	s_wait_alu 0xfffd
	v_add_co_ci_u32_e32 v7, vcc_lo, 0, v8, vcc_lo
	s_delay_alu instid0(VALU_DEP_2) | instskip(SKIP_1) | instid1(VALU_DEP_2)
	v_add_co_u32 v4, vcc_lo, v4, v9
	s_wait_alu 0xfffd
	v_add_co_ci_u32_e32 v4, vcc_lo, v7, v10, vcc_lo
	s_wait_alu 0xfffd
	v_add_co_ci_u32_e32 v7, vcc_lo, 0, v12, vcc_lo
	s_delay_alu instid0(VALU_DEP_2) | instskip(SKIP_1) | instid1(VALU_DEP_2)
	v_add_co_u32 v4, vcc_lo, v4, v11
	s_wait_alu 0xfffd
	v_add_co_ci_u32_e32 v9, vcc_lo, 0, v7, vcc_lo
	s_delay_alu instid0(VALU_DEP_2) | instskip(SKIP_1) | instid1(VALU_DEP_3)
	v_mul_lo_u32 v10, s19, v4
	v_mad_co_u64_u32 v[7:8], null, s18, v4, 0
	v_mul_lo_u32 v11, s18, v9
	s_delay_alu instid0(VALU_DEP_2) | instskip(NEXT) | instid1(VALU_DEP_2)
	v_sub_co_u32 v7, vcc_lo, v5, v7
	v_add3_u32 v8, v8, v11, v10
	s_delay_alu instid0(VALU_DEP_1) | instskip(SKIP_1) | instid1(VALU_DEP_1)
	v_sub_nc_u32_e32 v10, v6, v8
	s_wait_alu 0xfffd
	v_subrev_co_ci_u32_e64 v10, s2, s19, v10, vcc_lo
	v_add_co_u32 v11, s2, v4, 2
	s_wait_alu 0xf1ff
	v_add_co_ci_u32_e64 v12, s2, 0, v9, s2
	v_sub_co_u32 v13, s2, v7, s18
	v_sub_co_ci_u32_e32 v8, vcc_lo, v6, v8, vcc_lo
	s_wait_alu 0xf1ff
	v_subrev_co_ci_u32_e64 v10, s2, 0, v10, s2
	s_delay_alu instid0(VALU_DEP_3) | instskip(NEXT) | instid1(VALU_DEP_3)
	v_cmp_le_u32_e32 vcc_lo, s18, v13
	v_cmp_eq_u32_e64 s2, s19, v8
	s_wait_alu 0xfffd
	v_cndmask_b32_e64 v13, 0, -1, vcc_lo
	v_cmp_le_u32_e32 vcc_lo, s19, v10
	s_wait_alu 0xfffd
	v_cndmask_b32_e64 v14, 0, -1, vcc_lo
	v_cmp_le_u32_e32 vcc_lo, s18, v7
	;; [unrolled: 3-line block ×3, first 2 shown]
	s_wait_alu 0xfffd
	v_cndmask_b32_e64 v15, 0, -1, vcc_lo
	v_cmp_eq_u32_e32 vcc_lo, s19, v10
	s_wait_alu 0xf1ff
	s_delay_alu instid0(VALU_DEP_2)
	v_cndmask_b32_e64 v7, v15, v7, s2
	s_wait_alu 0xfffd
	v_cndmask_b32_e32 v10, v14, v13, vcc_lo
	v_add_co_u32 v13, vcc_lo, v4, 1
	s_wait_alu 0xfffd
	v_add_co_ci_u32_e32 v14, vcc_lo, 0, v9, vcc_lo
	s_delay_alu instid0(VALU_DEP_3) | instskip(SKIP_2) | instid1(VALU_DEP_3)
	v_cmp_ne_u32_e32 vcc_lo, 0, v10
	s_wait_alu 0xfffd
	v_cndmask_b32_e32 v10, v13, v11, vcc_lo
	v_cndmask_b32_e32 v8, v14, v12, vcc_lo
	v_cmp_ne_u32_e32 vcc_lo, 0, v7
	s_wait_alu 0xfffd
	s_delay_alu instid0(VALU_DEP_2)
	v_dual_cndmask_b32 v7, v4, v10 :: v_dual_cndmask_b32 v8, v9, v8
.LBB0_4:                                ;   in Loop: Header=BB0_2 Depth=1
	s_wait_alu 0xfffe
	s_and_not1_saveexec_b32 s2, s20
	s_cbranch_execz .LBB0_6
; %bb.5:                                ;   in Loop: Header=BB0_2 Depth=1
	v_cvt_f32_u32_e32 v4, s18
	s_sub_co_i32 s20, 0, s18
	s_delay_alu instid0(VALU_DEP_1) | instskip(NEXT) | instid1(TRANS32_DEP_1)
	v_rcp_iflag_f32_e32 v4, v4
	v_mul_f32_e32 v4, 0x4f7ffffe, v4
	s_delay_alu instid0(VALU_DEP_1) | instskip(SKIP_1) | instid1(VALU_DEP_1)
	v_cvt_u32_f32_e32 v4, v4
	s_wait_alu 0xfffe
	v_mul_lo_u32 v7, s20, v4
	s_delay_alu instid0(VALU_DEP_1) | instskip(NEXT) | instid1(VALU_DEP_1)
	v_mul_hi_u32 v7, v4, v7
	v_add_nc_u32_e32 v4, v4, v7
	s_delay_alu instid0(VALU_DEP_1) | instskip(NEXT) | instid1(VALU_DEP_1)
	v_mul_hi_u32 v4, v5, v4
	v_mul_lo_u32 v7, v4, s18
	v_add_nc_u32_e32 v8, 1, v4
	s_delay_alu instid0(VALU_DEP_2) | instskip(NEXT) | instid1(VALU_DEP_1)
	v_sub_nc_u32_e32 v7, v5, v7
	v_subrev_nc_u32_e32 v9, s18, v7
	v_cmp_le_u32_e32 vcc_lo, s18, v7
	s_wait_alu 0xfffd
	s_delay_alu instid0(VALU_DEP_2) | instskip(NEXT) | instid1(VALU_DEP_1)
	v_dual_cndmask_b32 v7, v7, v9 :: v_dual_cndmask_b32 v4, v4, v8
	v_cmp_le_u32_e32 vcc_lo, s18, v7
	s_delay_alu instid0(VALU_DEP_2) | instskip(SKIP_1) | instid1(VALU_DEP_1)
	v_add_nc_u32_e32 v8, 1, v4
	s_wait_alu 0xfffd
	v_dual_cndmask_b32 v7, v4, v8 :: v_dual_mov_b32 v8, v3
.LBB0_6:                                ;   in Loop: Header=BB0_2 Depth=1
	s_wait_alu 0xfffe
	s_or_b32 exec_lo, exec_lo, s2
	s_load_b64 s[20:21], s[12:13], 0x0
	s_delay_alu instid0(VALU_DEP_1)
	v_mul_lo_u32 v4, v8, s18
	v_mul_lo_u32 v11, v7, s19
	v_mad_co_u64_u32 v[9:10], null, v7, s18, 0
	s_add_nc_u64 s[14:15], s[14:15], 1
	s_add_nc_u64 s[12:13], s[12:13], 8
	s_wait_alu 0xfffe
	v_cmp_ge_u64_e64 s2, s[14:15], s[6:7]
	s_add_nc_u64 s[16:17], s[16:17], 8
	s_delay_alu instid0(VALU_DEP_2) | instskip(NEXT) | instid1(VALU_DEP_3)
	v_add3_u32 v4, v10, v11, v4
	v_sub_co_u32 v5, vcc_lo, v5, v9
	s_wait_alu 0xfffd
	s_delay_alu instid0(VALU_DEP_2) | instskip(SKIP_3) | instid1(VALU_DEP_2)
	v_sub_co_ci_u32_e32 v4, vcc_lo, v6, v4, vcc_lo
	s_and_b32 vcc_lo, exec_lo, s2
	s_wait_kmcnt 0x0
	v_mul_lo_u32 v6, s21, v5
	v_mul_lo_u32 v4, s20, v4
	v_mad_co_u64_u32 v[1:2], null, s20, v5, v[1:2]
	s_delay_alu instid0(VALU_DEP_1)
	v_add3_u32 v2, v6, v2, v4
	s_wait_alu 0xfffe
	s_cbranch_vccnz .LBB0_9
; %bb.7:                                ;   in Loop: Header=BB0_2 Depth=1
	v_dual_mov_b32 v5, v7 :: v_dual_mov_b32 v6, v8
	s_branch .LBB0_2
.LBB0_8:
	v_dual_mov_b32 v8, v6 :: v_dual_mov_b32 v7, v5
.LBB0_9:
	s_lshl_b64 s[2:3], s[6:7], 3
	v_mul_hi_u32 v3, 0x11bb4a5, v0
	s_wait_alu 0xfffe
	s_add_nc_u64 s[2:3], s[10:11], s[2:3]
	s_load_b64 s[2:3], s[2:3], 0x0
	s_load_b64 s[0:1], s[0:1], 0x20
	s_delay_alu instid0(VALU_DEP_1) | instskip(NEXT) | instid1(VALU_DEP_1)
	v_mul_u32_u24_e32 v3, 0xe7, v3
	v_sub_nc_u32_e32 v68, v0, v3
	s_delay_alu instid0(VALU_DEP_1)
	v_add_nc_u32_e32 v72, 0xe7, v68
	v_add_nc_u32_e32 v74, 0x1ce, v68
	s_wait_kmcnt 0x0
	v_mul_lo_u32 v4, s2, v8
	v_mul_lo_u32 v5, s3, v7
	v_mad_co_u64_u32 v[1:2], null, s2, v7, v[1:2]
	v_cmp_gt_u64_e32 vcc_lo, s[0:1], v[7:8]
	v_cmp_le_u64_e64 s0, s[0:1], v[7:8]
	s_delay_alu instid0(VALU_DEP_3) | instskip(NEXT) | instid1(VALU_DEP_2)
	v_add3_u32 v2, v5, v2, v4
	s_and_saveexec_b32 s1, s0
	s_wait_alu 0xfffe
	s_xor_b32 s0, exec_lo, s1
; %bb.10:
	v_add_nc_u32_e32 v72, 0xe7, v68
	v_add_nc_u32_e32 v74, 0x1ce, v68
; %bb.11:
	s_wait_alu 0xfffe
	s_or_saveexec_b32 s1, s0
	v_lshlrev_b64_e32 v[70:71], 4, v[1:2]
	v_lshl_add_u32 v187, v68, 4, 0
	s_wait_alu 0xfffe
	s_xor_b32 exec_lo, exec_lo, s1
	s_cbranch_execz .LBB0_13
; %bb.12:
	v_mov_b32_e32 v69, 0
	v_add_co_u32 v2, s0, s8, v70
	s_wait_alu 0xf1ff
	v_add_co_ci_u32_e64 v3, s0, s9, v71, s0
	s_delay_alu instid0(VALU_DEP_3) | instskip(NEXT) | instid1(VALU_DEP_1)
	v_lshlrev_b64_e32 v[0:1], 4, v[68:69]
	v_add_co_u32 v28, s0, v2, v0
	s_wait_alu 0xf1ff
	s_delay_alu instid0(VALU_DEP_2)
	v_add_co_ci_u32_e64 v29, s0, v3, v1, s0
	s_clause 0x7
	global_load_b128 v[0:3], v[28:29], off
	global_load_b128 v[4:7], v[28:29], off offset:3696
	global_load_b128 v[8:11], v[28:29], off offset:7392
	;; [unrolled: 1-line block ×7, first 2 shown]
	s_wait_loadcnt 0x7
	ds_store_b128 v187, v[0:3]
	s_wait_loadcnt 0x6
	ds_store_b128 v187, v[4:7] offset:3696
	s_wait_loadcnt 0x5
	ds_store_b128 v187, v[8:11] offset:7392
	;; [unrolled: 2-line block ×7, first 2 shown]
.LBB0_13:
	s_or_b32 exec_lo, exec_lo, s1
	global_wb scope:SCOPE_SE
	s_wait_dscnt 0x0
	s_barrier_signal -1
	s_barrier_wait -1
	global_inv scope:SCOPE_SE
	ds_load_b128 v[0:3], v187 offset:9856
	ds_load_b128 v[4:7], v187 offset:19712
	ds_load_b128 v[8:11], v187 offset:23408
	ds_load_b128 v[12:15], v187 offset:13552
	ds_load_b128 v[16:19], v187 offset:17248
	ds_load_b128 v[20:23], v187 offset:27104
	ds_load_b128 v[24:27], v187 offset:7392
	ds_load_b128 v[28:31], v187
	ds_load_b128 v[32:35], v187 offset:3696
	s_mov_b32 s0, 0xe8584caa
	s_mov_b32 s1, 0xbfebb67a
	;; [unrolled: 1-line block ×3, first 2 shown]
	s_wait_alu 0xfffe
	s_mov_b32 s2, s0
	global_wb scope:SCOPE_SE
	s_wait_dscnt 0x0
	s_barrier_signal -1
	s_barrier_wait -1
	global_inv scope:SCOPE_SE
	v_add_f64_e32 v[36:37], v[0:1], v[4:5]
	v_add_f64_e32 v[38:39], v[2:3], v[6:7]
	;; [unrolled: 1-line block ×7, first 2 shown]
	v_add_f64_e64 v[50:51], v[2:3], -v[6:7]
	v_add_f64_e32 v[2:3], v[30:31], v[2:3]
	v_add_f64_e32 v[52:53], v[32:33], v[12:13]
	;; [unrolled: 1-line block ×5, first 2 shown]
	v_add_f64_e64 v[14:15], v[14:15], -v[10:11]
	v_fma_f64 v[28:29], v[36:37], -0.5, v[28:29]
	v_add_f64_e64 v[36:37], v[0:1], -v[4:5]
	v_fma_f64 v[30:31], v[38:39], -0.5, v[30:31]
	v_fma_f64 v[32:33], v[40:41], -0.5, v[32:33]
	v_add_f64_e64 v[38:39], v[12:13], -v[8:9]
	v_fma_f64 v[34:35], v[42:43], -0.5, v[34:35]
	v_add_f64_e64 v[40:41], v[18:19], -v[22:23]
	;; [unrolled: 2-line block ×3, first 2 shown]
	v_fma_f64 v[26:27], v[46:47], -0.5, v[26:27]
	v_add_f64_e32 v[0:1], v[48:49], v[4:5]
	v_add_f64_e32 v[2:3], v[2:3], v[6:7]
	;; [unrolled: 1-line block ×6, first 2 shown]
	v_fma_f64 v[60:61], v[50:51], s[0:1], v[28:29]
	s_wait_alu 0xfffe
	v_fma_f64 v[28:29], v[50:51], s[2:3], v[28:29]
	v_fma_f64 v[62:63], v[36:37], s[2:3], v[30:31]
	;; [unrolled: 1-line block ×11, first 2 shown]
	v_lshl_add_u32 v32, v68, 5, v187
	v_mad_i32_i24 v33, v72, 48, 0
	s_mov_b32 s1, exec_lo
	ds_store_b128 v32, v[0:3]
	ds_store_b128 v32, v[60:63] offset:16
	ds_store_b128 v32, v[28:31] offset:32
	ds_store_b128 v33, v[16:19]
	ds_store_b128 v33, v[12:15] offset:16
	ds_store_b128 v33, v[4:7] offset:32
	v_cmpx_gt_u32_e32 0x9a, v68
	s_cbranch_execz .LBB0_15
; %bb.14:
	v_mad_i32_i24 v32, v74, 48, 0
	ds_store_b128 v32, v[8:11]
	ds_store_b128 v32, v[20:23] offset:16
	ds_store_b128 v32, v[24:27] offset:32
.LBB0_15:
	s_wait_alu 0xfffe
	s_or_b32 exec_lo, exec_lo, s1
	v_cmp_gt_u32_e64 s0, 0xa8, v68
	global_wb scope:SCOPE_SE
	s_wait_dscnt 0x0
	s_barrier_signal -1
	s_barrier_wait -1
	global_inv scope:SCOPE_SE
                                        ; implicit-def: $vgpr66_vgpr67
                                        ; implicit-def: $vgpr50_vgpr51
	s_and_saveexec_b32 s1, s0
	s_cbranch_execz .LBB0_17
; %bb.16:
	ds_load_b128 v[0:3], v187
	ds_load_b128 v[60:63], v187 offset:2688
	ds_load_b128 v[28:31], v187 offset:5376
	;; [unrolled: 1-line block ×10, first 2 shown]
.LBB0_17:
	s_wait_alu 0xfffe
	s_or_b32 exec_lo, exec_lo, s1
	v_and_b32_e32 v69, 0xff, v68
	s_mov_b32 s2, 0x8764f0ba
	s_mov_b32 s6, 0xf8bb580b
	;; [unrolled: 1-line block ×4, first 2 shown]
	v_mul_lo_u16 v32, 0xab, v69
	s_mov_b32 s16, 0x43842ef
	s_mov_b32 s14, 0x640f44db
	;; [unrolled: 1-line block ×4, first 2 shown]
	v_lshrrev_b16 v73, 9, v32
	s_mov_b32 s3, 0x3feaeb8c
	s_mov_b32 s7, 0xbfe14ced
	;; [unrolled: 1-line block ×4, first 2 shown]
	v_mul_lo_u16 v32, v73, 3
	s_mov_b32 s17, 0xbfefac9e
	s_mov_b32 s15, 0xbfc2375f
	;; [unrolled: 1-line block ×4, first 2 shown]
	v_sub_nc_u16 v32, v68, v32
	s_mov_b32 s22, 0x9bcd5057
	s_mov_b32 s28, 0xfd768dbf
	;; [unrolled: 1-line block ×4, first 2 shown]
	v_and_b32_e32 v188, 0xff, v32
	s_mov_b32 s27, 0x3fefac9e
	s_mov_b32 s26, s16
	;; [unrolled: 1-line block ×4, first 2 shown]
	v_mul_u32_u24_e32 v32, 10, v188
	s_mov_b32 s31, 0xbfd207e7
	s_mov_b32 s30, s28
	;; [unrolled: 1-line block ×3, first 2 shown]
	s_wait_alu 0xfffe
	s_mov_b32 s34, s6
	v_lshlrev_b32_e32 v32, 4, v32
	s_clause 0x9
	global_load_b128 v[77:80], v32, s[4:5]
	global_load_b128 v[81:84], v32, s[4:5] offset:144
	global_load_b128 v[85:88], v32, s[4:5] offset:16
	;; [unrolled: 1-line block ×9, first 2 shown]
	global_wb scope:SCOPE_SE
	s_wait_loadcnt_dscnt 0x0
	s_barrier_signal -1
	s_barrier_wait -1
	global_inv scope:SCOPE_SE
	v_mul_f64_e32 v[75:76], v[60:61], v[79:80]
	v_mul_f64_e32 v[89:90], v[64:65], v[83:84]
	;; [unrolled: 1-line block ×18, first 2 shown]
	v_fma_f64 v[75:76], v[62:63], v[77:78], -v[75:76]
	v_fma_f64 v[62:63], v[66:67], v[81:82], -v[89:90]
	v_mul_f64_e32 v[89:90], v[16:17], v[54:55]
	v_fma_f64 v[66:67], v[30:31], v[85:86], -v[95:96]
	v_fma_f64 v[50:51], v[50:51], v[91:92], -v[97:98]
	v_fma_f64 v[77:78], v[60:61], v[77:78], v[79:80]
	v_fma_f64 v[30:31], v[64:65], v[81:82], v[83:84]
	v_fma_f64 v[26:27], v[26:27], v[56:57], -v[99:100]
	v_fma_f64 v[171:172], v[16:17], v[52:53], v[101:102]
	v_fma_f64 v[167:168], v[14:15], v[40:41], -v[103:104]
	;; [unrolled: 2-line block ×3, first 2 shown]
	v_fma_f64 v[179:180], v[6:7], v[36:37], -v[109:110]
	v_fma_f64 v[147:148], v[10:11], v[32:33], -v[111:112]
	v_fma_f64 v[34:35], v[20:21], v[44:45], v[115:116]
	v_fma_f64 v[185:186], v[4:5], v[36:37], v[141:142]
	;; [unrolled: 1-line block ×3, first 2 shown]
	v_add_f64_e64 v[64:65], v[75:76], -v[62:63]
	v_add_f64_e32 v[60:61], v[75:76], v[62:63]
	v_fma_f64 v[54:55], v[18:19], v[52:53], -v[89:90]
	v_fma_f64 v[89:90], v[28:29], v[85:86], v[87:88]
	v_fma_f64 v[28:29], v[48:49], v[91:92], v[93:94]
	v_add_f64_e64 v[85:86], v[66:67], -v[50:51]
	v_add_f64_e32 v[48:49], v[66:67], v[50:51]
	v_add_f64_e32 v[79:80], v[77:78], v[30:31]
	v_add_f64_e64 v[91:92], v[77:78], -v[30:31]
	v_mul_f64_e32 v[18:19], v[14:15], v[42:43]
	v_add_f64_e32 v[44:45], v[171:172], v[24:25]
	v_add_f64_e64 v[173:174], v[171:172], -v[24:25]
	v_add_f64_e64 v[127:128], v[167:168], -v[22:23]
	v_add_f64_e32 v[20:21], v[167:168], v[22:23]
	v_add_f64_e32 v[32:33], v[179:180], v[147:148]
	v_mul_f64_e32 v[58:59], s[6:7], v[64:65]
	v_mul_f64_e32 v[81:82], s[2:3], v[60:61]
	;; [unrolled: 1-line block ×8, first 2 shown]
	v_add_f64_e64 v[99:100], v[54:55], -v[26:27]
	v_add_f64_e32 v[42:43], v[54:55], v[26:27]
	v_add_f64_e32 v[101:102], v[89:90], v[28:29]
	v_add_f64_e64 v[165:166], v[89:90], -v[28:29]
	v_mul_f64_e32 v[46:47], s[12:13], v[85:86]
	v_mul_f64_e32 v[52:53], s[10:11], v[48:49]
	;; [unrolled: 1-line block ×8, first 2 shown]
	v_fma_f64 v[183:184], v[12:13], v[40:41], v[18:19]
	v_mul_f64_e32 v[36:37], s[20:21], v[127:128]
	v_mul_f64_e32 v[109:110], s[18:19], v[20:21]
	;; [unrolled: 1-line block ×5, first 2 shown]
	v_fma_f64 v[14:15], v[79:80], s[2:3], -v[58:59]
	v_fma_f64 v[16:17], v[91:92], s[6:7], v[81:82]
	v_fma_f64 v[117:118], v[79:80], s[10:11], -v[83:84]
	v_fma_f64 v[121:122], v[91:92], s[12:13], v[87:88]
	;; [unrolled: 2-line block ×4, first 2 shown]
	v_mul_f64_e32 v[38:39], s[16:17], v[99:100]
	v_mul_f64_e32 v[40:41], s[14:15], v[42:43]
	;; [unrolled: 1-line block ×8, first 2 shown]
	v_fma_f64 v[6:7], v[101:102], s[10:11], -v[46:47]
	v_fma_f64 v[10:11], v[165:166], s[12:13], v[52:53]
	v_fma_f64 v[12:13], v[101:102], s[18:19], -v[56:57]
	v_fma_f64 v[18:19], v[165:166], s[20:21], v[103:104]
	;; [unrolled: 2-line block ×4, first 2 shown]
	v_add_f64_e32 v[115:116], v[183:184], v[34:35]
	v_add_f64_e64 v[175:176], v[183:184], -v[34:35]
	v_add_f64_e32 v[14:15], v[0:1], v[14:15]
	v_add_f64_e32 v[16:17], v[2:3], v[16:17]
	;; [unrolled: 1-line block ×8, first 2 shown]
	v_add_f64_e64 v[135:136], v[179:180], -v[147:148]
	v_mul_f64_e32 v[117:118], s[26:27], v[127:128]
	v_mul_f64_e32 v[121:122], s[14:15], v[20:21]
	;; [unrolled: 1-line block ×4, first 2 shown]
	v_fma_f64 v[4:5], v[44:45], s[14:15], -v[38:39]
	v_fma_f64 v[8:9], v[173:174], s[16:17], v[40:41]
	v_fma_f64 v[193:194], v[44:45], s[22:23], -v[107:108]
	v_fma_f64 v[195:196], v[173:174], s[28:29], v[111:112]
	v_fma_f64 v[197:198], v[44:45], s[10:11], -v[119:120]
	v_fma_f64 v[199:200], v[173:174], s[6:7], v[153:154]
	v_fma_f64 v[205:206], v[115:116], s[18:19], -v[36:37]
	v_fma_f64 v[207:208], v[175:176], s[20:21], v[109:110]
	v_add_f64_e32 v[6:7], v[6:7], v[14:15]
	v_fma_f64 v[14:15], v[173:174], s[24:25], v[125:126]
	v_add_f64_e32 v[10:11], v[10:11], v[16:17]
	v_fma_f64 v[16:17], v[44:45], s[2:3], -v[139:140]
	v_add_f64_e32 v[12:13], v[12:13], v[159:160]
	v_add_f64_e32 v[18:19], v[18:19], v[169:170]
	;; [unrolled: 1-line block ×7, first 2 shown]
	v_add_f64_e64 v[177:178], v[185:186], -v[181:182]
	v_mul_f64_e32 v[137:138], s[30:31], v[135:136]
	v_mul_f64_e32 v[145:146], s[34:35], v[135:136]
	;; [unrolled: 1-line block ×7, first 2 shown]
	v_fma_f64 v[209:210], v[115:116], s[14:15], -v[117:118]
	v_fma_f64 v[211:212], v[175:176], s[26:27], v[121:122]
	v_fma_f64 v[213:214], v[115:116], s[2:3], -v[131:132]
	v_add_f64_e32 v[4:5], v[4:5], v[6:7]
	v_fma_f64 v[6:7], v[175:176], s[6:7], v[133:134]
	v_add_f64_e32 v[8:9], v[8:9], v[10:11]
	v_fma_f64 v[10:11], v[115:116], s[22:23], -v[155:156]
	v_add_f64_e32 v[12:13], v[193:194], v[12:13]
	v_fma_f64 v[193:194], v[175:176], s[30:31], v[161:162]
	v_add_f64_e32 v[18:19], v[195:196], v[18:19]
	v_add_f64_e32 v[195:196], v[197:198], v[201:202]
	;; [unrolled: 1-line block ×5, first 2 shown]
	v_fma_f64 v[197:198], v[177:178], s[30:31], v[141:142]
	v_fma_f64 v[191:192], v[149:150], s[22:23], -v[137:138]
	v_fma_f64 v[199:200], v[149:150], s[2:3], -v[145:146]
	v_fma_f64 v[201:202], v[177:178], s[34:35], v[151:152]
	v_fma_f64 v[203:204], v[149:150], s[18:19], -v[157:158]
	v_add_f64_e32 v[4:5], v[205:206], v[4:5]
	v_fma_f64 v[205:206], v[177:178], s[20:21], v[159:160]
	v_add_f64_e32 v[8:9], v[207:208], v[8:9]
	v_fma_f64 v[207:208], v[149:150], s[10:11], -v[163:164]
	v_add_f64_e32 v[12:13], v[209:210], v[12:13]
	v_fma_f64 v[209:210], v[177:178], s[24:25], v[169:170]
	v_add_f64_e32 v[211:212], v[211:212], v[18:19]
	v_add_f64_e32 v[195:196], v[213:214], v[195:196]
	;; [unrolled: 1-line block ×13, first 2 shown]
	s_and_saveexec_b32 s1, s0
	s_cbranch_execz .LBB0_19
; %bb.18:
	v_add_f64_e32 v[75:76], v[2:3], v[75:76]
	v_add_f64_e32 v[77:78], v[0:1], v[77:78]
	v_mul_f64_e32 v[189:190], s[10:11], v[79:80]
	v_mul_f64_e32 v[64:65], s[30:31], v[64:65]
	v_mul_f64_e32 v[191:192], s[14:15], v[79:80]
	v_mul_f64_e32 v[193:194], s[18:19], v[79:80]
	v_mul_f64_e32 v[85:86], s[34:35], v[85:86]
	v_mul_f64_e32 v[195:196], s[26:27], v[165:166]
	v_mul_f64_e32 v[199:200], s[28:29], v[165:166]
	v_mul_f64_e32 v[203:204], s[20:21], v[165:166]
	v_mul_f64_e32 v[205:206], s[18:19], v[101:102]
	v_mul_f64_e32 v[201:202], s[22:23], v[101:102]
	v_mul_f64_e32 v[197:198], s[14:15], v[101:102]
	v_mul_f64_e32 v[207:208], s[10:11], v[101:102]
	v_mul_f64_e32 v[99:100], s[20:21], v[99:100]
	v_mul_f64_e32 v[127:128], s[24:25], v[127:128]
	v_add_f64_e32 v[66:67], v[75:76], v[66:67]
	v_add_f64_e32 v[75:76], v[77:78], v[89:90]
	v_mul_f64_e32 v[77:78], s[20:21], v[91:92]
	v_mul_f64_e32 v[89:90], s[16:17], v[91:92]
	v_add_f64_e32 v[83:84], v[189:190], v[83:84]
	v_fma_f64 v[211:212], v[79:80], s[22:23], -v[64:65]
	v_fma_f64 v[64:65], v[79:80], s[22:23], v[64:65]
	v_fma_f64 v[189:190], v[101:102], s[2:3], -v[85:86]
	v_fma_f64 v[85:86], v[101:102], s[2:3], v[85:86]
	v_add_f64_e64 v[101:102], v[143:144], -v[195:196]
	v_add_f64_e64 v[113:114], v[113:114], -v[199:200]
	;; [unrolled: 1-line block ×3, first 2 shown]
	v_add_f64_e32 v[56:57], v[205:206], v[56:57]
	v_add_f64_e32 v[105:106], v[201:202], v[105:106]
	;; [unrolled: 1-line block ×4, first 2 shown]
	v_mul_f64_e32 v[195:196], s[30:31], v[175:176]
	v_fma_f64 v[199:200], v[44:45], s[18:19], -v[99:100]
	v_add_f64_e32 v[54:55], v[66:67], v[54:55]
	v_add_f64_e32 v[66:67], v[75:76], v[171:172]
	v_mul_f64_e32 v[75:76], s[30:31], v[91:92]
	v_mul_f64_e32 v[171:172], s[12:13], v[91:92]
	;; [unrolled: 1-line block ×3, first 2 shown]
	v_add_f64_e32 v[83:84], v[0:1], v[83:84]
	v_add_f64_e32 v[64:65], v[0:1], v[64:65]
	;; [unrolled: 1-line block ×4, first 2 shown]
	v_mul_f64_e32 v[167:168], s[2:3], v[79:80]
	v_mul_f64_e32 v[183:184], s[34:35], v[165:166]
	v_fma_f64 v[209:210], v[60:61], s[22:23], v[75:76]
	v_fma_f64 v[60:61], v[60:61], s[22:23], -v[75:76]
	v_add_f64_e64 v[75:76], v[129:130], -v[77:78]
	v_add_f64_e64 v[77:78], v[95:96], -v[89:90]
	;; [unrolled: 1-line block ×3, first 2 shown]
	v_mul_f64_e32 v[165:166], s[12:13], v[165:166]
	v_add_f64_e32 v[89:90], v[191:192], v[93:94]
	v_add_f64_e32 v[93:94], v[193:194], v[97:98]
	v_add_f64_e64 v[79:80], v[81:82], -v[91:92]
	v_mul_f64_e32 v[81:82], s[14:15], v[44:45]
	v_mul_f64_e32 v[91:92], s[16:17], v[173:174]
	;; [unrolled: 1-line block ×7, first 2 shown]
	v_fma_f64 v[44:45], v[44:45], s[18:19], v[99:100]
	v_add_f64_e32 v[56:57], v[56:57], v[83:84]
	v_mul_f64_e32 v[193:194], s[22:23], v[115:116]
	v_add_f64_e32 v[64:65], v[85:86], v[64:65]
	v_mul_f64_e32 v[85:86], s[18:19], v[149:150]
	v_add_f64_e32 v[54:55], v[54:55], v[179:180]
	v_add_f64_e32 v[66:67], v[66:67], v[185:186]
	;; [unrolled: 1-line block ×3, first 2 shown]
	v_mul_f64_e32 v[167:168], s[24:25], v[173:174]
	v_mul_f64_e32 v[179:180], s[6:7], v[173:174]
	;; [unrolled: 1-line block ×3, first 2 shown]
	v_fma_f64 v[185:186], v[48:49], s[2:3], v[183:184]
	v_fma_f64 v[48:49], v[48:49], s[2:3], -v[183:184]
	v_add_f64_e32 v[143:144], v[2:3], v[209:210]
	v_add_f64_e32 v[60:61], v[2:3], v[60:61]
	;; [unrolled: 1-line block ×5, first 2 shown]
	v_add_f64_e64 v[52:53], v[52:53], -v[165:166]
	v_add_f64_e32 v[165:166], v[0:1], v[211:212]
	v_add_f64_e32 v[89:90], v[0:1], v[89:90]
	;; [unrolled: 1-line block ×4, first 2 shown]
	v_mul_f64_e32 v[79:80], s[20:21], v[175:176]
	v_add_f64_e64 v[97:98], v[111:112], -v[97:98]
	v_add_f64_e32 v[95:96], v[95:96], v[107:108]
	v_add_f64_e32 v[38:39], v[81:82], v[38:39]
	v_mul_f64_e32 v[183:184], s[2:3], v[115:116]
	v_add_f64_e32 v[119:120], v[129:130], v[119:120]
	v_add_f64_e64 v[40:41], v[40:41], -v[91:92]
	v_add_f64_e32 v[139:140], v[171:172], v[139:140]
	v_fma_f64 v[111:112], v[115:116], s[10:11], -v[127:128]
	v_add_f64_e32 v[44:45], v[44:45], v[64:65]
	v_add_f64_e32 v[85:86], v[85:86], v[157:158]
	;; [unrolled: 1-line block ×5, first 2 shown]
	v_mul_f64_e32 v[58:59], s[18:19], v[115:116]
	v_mul_f64_e32 v[147:148], s[14:15], v[115:116]
	;; [unrolled: 1-line block ×4, first 2 shown]
	v_fma_f64 v[197:198], v[42:43], s[18:19], v[173:174]
	v_fma_f64 v[42:43], v[42:43], s[18:19], -v[173:174]
	v_add_f64_e64 v[99:100], v[153:154], -v[179:180]
	v_add_f64_e64 v[125:126], v[125:126], -v[167:168]
	v_add_f64_e32 v[81:82], v[185:186], v[143:144]
	v_add_f64_e32 v[48:49], v[48:49], v[60:61]
	;; [unrolled: 1-line block ×9, first 2 shown]
	v_mul_f64_e32 v[89:90], s[20:21], v[177:178]
	v_mul_f64_e32 v[101:102], s[24:25], v[177:178]
	v_mul_f64_e32 v[103:104], s[16:17], v[177:178]
	v_fma_f64 v[113:114], v[115:116], s[10:11], v[127:128]
	v_add_f64_e64 v[115:116], v[161:162], -v[195:196]
	v_add_f64_e64 v[127:128], v[133:134], -v[191:192]
	v_add_f64_e32 v[56:57], v[95:96], v[56:57]
	v_mul_f64_e32 v[105:106], s[16:17], v[135:136]
	v_add_f64_e32 v[129:130], v[183:184], v[131:132]
	v_mul_f64_e32 v[93:94], s[10:11], v[149:150]
	;; [unrolled: 2-line block ×3, first 2 shown]
	v_add_f64_e64 v[79:80], v[109:110], -v[79:80]
	v_add_f64_e32 v[22:23], v[54:55], v[22:23]
	v_add_f64_e32 v[34:35], v[66:67], v[34:35]
	;; [unrolled: 1-line block ×3, first 2 shown]
	v_mul_f64_e32 v[46:47], s[22:23], v[149:150]
	v_mul_f64_e32 v[54:55], s[2:3], v[149:150]
	;; [unrolled: 1-line block ×3, first 2 shown]
	v_fma_f64 v[107:108], v[20:21], s[10:11], v[175:176]
	v_fma_f64 v[20:21], v[20:21], s[10:11], -v[175:176]
	v_add_f64_e64 v[121:122], v[121:122], -v[181:182]
	v_add_f64_e32 v[117:118], v[147:148], v[117:118]
	v_add_f64_e32 v[36:37], v[58:59], v[36:37]
	;; [unrolled: 1-line block ×11, first 2 shown]
	v_add_f64_e64 v[87:88], v[159:160], -v[89:90]
	v_add_f64_e32 v[44:45], v[113:114], v[44:45]
	v_fma_f64 v[40:41], v[149:150], s[14:15], v[105:106]
	v_add_f64_e32 v[64:65], v[93:94], v[163:164]
	v_add_f64_e64 v[52:53], v[141:142], -v[52:53]
	v_add_f64_e32 v[22:23], v[22:23], v[26:27]
	v_add_f64_e32 v[24:25], v[34:35], v[24:25]
	;; [unrolled: 1-line block ×3, first 2 shown]
	v_fma_f64 v[26:27], v[32:33], s[14:15], v[103:104]
	v_add_f64_e64 v[38:39], v[169:170], -v[101:102]
	v_add_f64_e64 v[66:67], v[151:152], -v[66:67]
	v_add_f64_e32 v[54:55], v[54:55], v[145:146]
	v_add_f64_e32 v[89:90], v[46:47], v[137:138]
	v_fma_f64 v[34:35], v[149:150], s[14:15], -v[105:106]
	v_add_f64_e32 v[56:57], v[117:118], v[56:57]
	v_fma_f64 v[32:33], v[32:33], s[14:15], -v[103:104]
	v_add_f64_e32 v[46:47], v[107:108], v[58:59]
	v_add_f64_e32 v[20:21], v[20:21], v[42:43]
	;; [unrolled: 1-line block ×26, first 2 shown]
	v_and_b32_e32 v28, 0xffff, v73
	v_lshlrev_b32_e32 v29, 4, v188
	s_delay_alu instid0(VALU_DEP_2) | instskip(NEXT) | instid1(VALU_DEP_1)
	v_mul_u32_u24_e32 v28, 0x210, v28
	v_add3_u32 v28, 0, v28, v29
	ds_store_b128 v28, v[8:11] offset:384
	ds_store_b128 v28, v[12:15] offset:432
	ds_store_b128 v28, v[36:39] offset:96
	ds_store_b128 v28, v[32:35] offset:144
	ds_store_b128 v28, v[24:27] offset:192
	ds_store_b128 v28, v[20:23] offset:240
	ds_store_b128 v28, v[0:3] offset:288
	ds_store_b128 v28, v[4:7] offset:336
	ds_store_b128 v28, v[44:47]
	ds_store_b128 v28, v[40:43] offset:48
	ds_store_b128 v28, v[16:19] offset:480
.LBB0_19:
	s_wait_alu 0xfffe
	s_or_b32 exec_lo, exec_lo, s1
	global_wb scope:SCOPE_SE
	s_wait_dscnt 0x0
	s_barrier_signal -1
	s_barrier_wait -1
	global_inv scope:SCOPE_SE
	ds_load_b128 v[28:31], v187
	ds_load_b128 v[48:51], v187 offset:4224
	ds_load_b128 v[44:47], v187 offset:8448
	;; [unrolled: 1-line block ×6, first 2 shown]
	v_cmp_gt_u32_e64 s0, 33, v68
	v_lshl_add_u32 v56, v72, 4, 0
                                        ; implicit-def: $vgpr26_vgpr27
                                        ; implicit-def: $vgpr22_vgpr23
                                        ; implicit-def: $vgpr2_vgpr3
	s_delay_alu instid0(VALU_DEP_2)
	s_and_saveexec_b32 s1, s0
	s_cbranch_execz .LBB0_21
; %bb.20:
	ds_load_b128 v[4:7], v56
	ds_load_b128 v[8:11], v187 offset:7920
	ds_load_b128 v[12:15], v187 offset:12144
	;; [unrolled: 1-line block ×6, first 2 shown]
.LBB0_21:
	s_wait_alu 0xfffe
	s_or_b32 exec_lo, exec_lo, s1
	v_mul_lo_u16 v57, 0xf9, v69
	s_mov_b32 s6, 0x37e14327
	s_mov_b32 s10, 0xe976ee23
	s_mov_b32 s7, 0x3fe948f6
	s_mov_b32 s11, 0x3fe11646
	v_lshrrev_b16 v67, 13, v57
	s_mov_b32 s2, 0x429ad128
	s_mov_b32 s3, 0xbfebfeb5
	;; [unrolled: 1-line block ×4, first 2 shown]
	v_mul_lo_u16 v57, v67, 33
	s_mov_b32 s12, 0xaaaaaaaa
	s_mov_b32 s20, 0xb247c609
	;; [unrolled: 1-line block ×4, first 2 shown]
	v_sub_nc_u16 v57, v68, v57
	s_mov_b32 s21, 0xbfd5d0dc
	s_mov_b32 s15, 0x3fe77f67
	;; [unrolled: 1-line block ×4, first 2 shown]
	v_and_b32_e32 v69, 0xff, v57
	s_wait_alu 0xfffe
	s_mov_b32 s18, s14
	s_mov_b32 s22, s20
	;; [unrolled: 1-line block ×4, first 2 shown]
	v_mul_u32_u24_e32 v57, 6, v69
	s_delay_alu instid0(VALU_DEP_1)
	v_lshlrev_b32_e32 v65, 4, v57
	s_clause 0x5
	global_load_b128 v[57:60], v65, s[4:5] offset:480
	global_load_b128 v[61:64], v65, s[4:5] offset:496
	;; [unrolled: 1-line block ×6, first 2 shown]
	global_wb scope:SCOPE_SE
	s_wait_loadcnt_dscnt 0x0
	s_barrier_signal -1
	s_barrier_wait -1
	global_inv scope:SCOPE_SE
	v_mul_f64_e32 v[65:66], v[50:51], v[59:60]
	v_mul_f64_e32 v[59:60], v[48:49], v[59:60]
	;; [unrolled: 1-line block ×12, first 2 shown]
	v_fma_f64 v[48:49], v[48:49], v[57:58], v[65:66]
	v_fma_f64 v[50:51], v[50:51], v[57:58], -v[59:60]
	v_fma_f64 v[44:45], v[44:45], v[61:62], v[91:92]
	v_fma_f64 v[46:47], v[46:47], v[61:62], -v[63:64]
	;; [unrolled: 2-line block ×6, first 2 shown]
	v_add_f64_e32 v[57:58], v[48:49], v[52:53]
	v_add_f64_e32 v[59:60], v[50:51], v[54:55]
	;; [unrolled: 1-line block ×4, first 2 shown]
	v_add_f64_e64 v[40:41], v[44:45], -v[40:41]
	v_add_f64_e64 v[42:43], v[46:47], -v[42:43]
	v_add_f64_e32 v[44:45], v[36:37], v[32:33]
	v_add_f64_e32 v[46:47], v[38:39], v[34:35]
	v_add_f64_e64 v[32:33], v[32:33], -v[36:37]
	v_add_f64_e64 v[34:35], v[34:35], -v[38:39]
	;; [unrolled: 1-line block ×4, first 2 shown]
	v_add_f64_e32 v[48:49], v[61:62], v[57:58]
	v_add_f64_e32 v[50:51], v[63:64], v[59:60]
	v_add_f64_e64 v[52:53], v[57:58], -v[44:45]
	v_add_f64_e64 v[54:55], v[59:60], -v[46:47]
	;; [unrolled: 1-line block ×6, first 2 shown]
	v_add_f64_e32 v[40:41], v[32:33], v[40:41]
	v_add_f64_e32 v[42:43], v[34:35], v[42:43]
	v_add_f64_e64 v[32:33], v[36:37], -v[32:33]
	v_add_f64_e64 v[34:35], v[38:39], -v[34:35]
	;; [unrolled: 1-line block ×4, first 2 shown]
	v_add_f64_e32 v[48:49], v[44:45], v[48:49]
	v_add_f64_e32 v[50:51], v[46:47], v[50:51]
	v_add_f64_e64 v[44:45], v[44:45], -v[61:62]
	v_add_f64_e64 v[46:47], v[46:47], -v[63:64]
	v_mul_f64_e32 v[52:53], s[6:7], v[52:53]
	v_mul_f64_e32 v[54:55], s[6:7], v[54:55]
	;; [unrolled: 1-line block ×6, first 2 shown]
	v_add_f64_e32 v[36:37], v[40:41], v[36:37]
	v_add_f64_e32 v[38:39], v[42:43], v[38:39]
	;; [unrolled: 1-line block ×4, first 2 shown]
	v_mul_f64_e32 v[61:62], s[16:17], v[44:45]
	v_mul_f64_e32 v[63:64], s[16:17], v[46:47]
	v_fma_f64 v[40:41], v[44:45], s[16:17], v[52:53]
	v_fma_f64 v[42:43], v[46:47], s[16:17], v[54:55]
	;; [unrolled: 1-line block ×4, first 2 shown]
	v_fma_f64 v[65:66], v[77:78], s[2:3], -v[65:66]
	v_fma_f64 v[75:76], v[79:80], s[2:3], -v[75:76]
	s_wait_alu 0xfffe
	v_fma_f64 v[32:33], v[32:33], s[22:23], -v[81:82]
	v_fma_f64 v[34:35], v[34:35], s[22:23], -v[83:84]
	;; [unrolled: 1-line block ×4, first 2 shown]
	v_fma_f64 v[48:49], v[48:49], s[12:13], v[28:29]
	v_fma_f64 v[50:51], v[50:51], s[12:13], v[30:31]
	v_fma_f64 v[57:58], v[57:58], s[14:15], -v[61:62]
	v_fma_f64 v[59:60], v[59:60], s[14:15], -v[63:64]
	v_fma_f64 v[61:62], v[36:37], s[24:25], v[44:45]
	v_fma_f64 v[63:64], v[38:39], s[24:25], v[46:47]
	;; [unrolled: 1-line block ×6, first 2 shown]
	v_add_f64_e32 v[77:78], v[40:41], v[48:49]
	v_add_f64_e32 v[79:80], v[42:43], v[50:51]
	;; [unrolled: 1-line block ×6, first 2 shown]
	v_and_b32_e32 v57, 0xffff, v67
	v_lshlrev_b32_e32 v58, 4, v69
	s_delay_alu instid0(VALU_DEP_2) | instskip(NEXT) | instid1(VALU_DEP_1)
	v_mul_u32_u24_e32 v57, 0xe70, v57
	v_add3_u32 v57, 0, v57, v58
	v_add_f64_e32 v[32:33], v[63:64], v[77:78]
	v_add_f64_e64 v[34:35], v[79:80], -v[61:62]
	v_add_f64_e32 v[36:37], v[75:76], v[52:53]
	v_add_f64_e64 v[38:39], v[54:55], -v[65:66]
	v_add_f64_e64 v[40:41], v[48:49], -v[44:45]
	v_add_f64_e32 v[42:43], v[46:47], v[50:51]
	v_add_f64_e32 v[44:45], v[44:45], v[48:49]
	v_add_f64_e64 v[46:47], v[50:51], -v[46:47]
	v_add_f64_e64 v[48:49], v[52:53], -v[75:76]
	v_add_f64_e32 v[50:51], v[65:66], v[54:55]
	v_add_f64_e64 v[52:53], v[77:78], -v[63:64]
	v_add_f64_e32 v[54:55], v[61:62], v[79:80]
	ds_store_b128 v57, v[28:31]
	ds_store_b128 v57, v[32:35] offset:528
	ds_store_b128 v57, v[36:39] offset:1056
	;; [unrolled: 1-line block ×6, first 2 shown]
	s_and_saveexec_b32 s1, s0
	s_cbranch_execz .LBB0_23
; %bb.22:
	v_and_b32_e32 v28, 0xffff, v72
	s_delay_alu instid0(VALU_DEP_1) | instskip(NEXT) | instid1(VALU_DEP_1)
	v_mul_u32_u24_e32 v28, 0xf83f, v28
	v_lshrrev_b32_e32 v28, 21, v28
	s_delay_alu instid0(VALU_DEP_1) | instskip(NEXT) | instid1(VALU_DEP_1)
	v_mul_lo_u16 v28, v28, 33
	v_sub_nc_u16 v28, v72, v28
	s_delay_alu instid0(VALU_DEP_1) | instskip(NEXT) | instid1(VALU_DEP_1)
	v_and_b32_e32 v65, 0xffff, v28
	v_mul_u32_u24_e32 v28, 6, v65
	s_delay_alu instid0(VALU_DEP_1)
	v_lshlrev_b32_e32 v48, 4, v28
	s_clause 0x5
	global_load_b128 v[28:31], v48, s[4:5] offset:496
	global_load_b128 v[32:35], v48, s[4:5] offset:544
	;; [unrolled: 1-line block ×6, first 2 shown]
	s_wait_loadcnt 0x5
	v_mul_f64_e32 v[52:53], v[12:13], v[30:31]
	s_wait_loadcnt 0x4
	v_mul_f64_e32 v[54:55], v[20:21], v[34:35]
	;; [unrolled: 2-line block ×4, first 2 shown]
	v_mul_f64_e32 v[30:31], v[14:15], v[30:31]
	v_mul_f64_e32 v[34:35], v[22:23], v[34:35]
	;; [unrolled: 1-line block ×4, first 2 shown]
	s_wait_loadcnt 0x1
	v_mul_f64_e32 v[61:62], v[2:3], v[46:47]
	s_wait_loadcnt 0x0
	v_mul_f64_e32 v[63:64], v[18:19], v[50:51]
	v_mul_f64_e32 v[50:51], v[16:17], v[50:51]
	;; [unrolled: 1-line block ×3, first 2 shown]
	v_fma_f64 v[14:15], v[14:15], v[28:29], -v[52:53]
	v_fma_f64 v[22:23], v[22:23], v[32:33], -v[54:55]
	;; [unrolled: 1-line block ×4, first 2 shown]
	v_fma_f64 v[12:13], v[12:13], v[28:29], v[30:31]
	v_fma_f64 v[20:21], v[20:21], v[32:33], v[34:35]
	;; [unrolled: 1-line block ×6, first 2 shown]
	v_fma_f64 v[18:19], v[18:19], v[48:49], -v[50:51]
	v_fma_f64 v[2:3], v[2:3], v[44:45], -v[46:47]
	v_add_f64_e32 v[28:29], v[14:15], v[22:23]
	v_add_f64_e64 v[14:15], v[14:15], -v[22:23]
	v_add_f64_e32 v[30:31], v[10:11], v[26:27]
	v_add_f64_e64 v[10:11], v[10:11], -v[26:27]
	;; [unrolled: 2-line block ×4, first 2 shown]
	v_add_f64_e64 v[36:37], v[0:1], -v[16:17]
	v_add_f64_e32 v[0:1], v[16:17], v[0:1]
	v_add_f64_e32 v[20:21], v[18:19], v[2:3]
	v_add_f64_e64 v[2:3], v[2:3], -v[18:19]
	v_add_f64_e32 v[16:17], v[28:29], v[30:31]
	v_add_f64_e64 v[42:43], v[14:15], -v[10:11]
	;; [unrolled: 2-line block ×3, first 2 shown]
	v_add_f64_e64 v[22:23], v[36:37], -v[12:13]
	v_add_f64_e64 v[26:27], v[34:35], -v[0:1]
	;; [unrolled: 1-line block ×5, first 2 shown]
	v_add_f64_e32 v[12:13], v[36:37], v[12:13]
	v_add_f64_e64 v[36:37], v[8:9], -v[36:37]
	v_add_f64_e32 v[14:15], v[2:3], v[14:15]
	v_add_f64_e64 v[48:49], v[10:11], -v[2:3]
	;; [unrolled: 2-line block ×3, first 2 shown]
	v_add_f64_e32 v[18:19], v[0:1], v[18:19]
	v_mul_f64_e32 v[46:47], s[2:3], v[38:39]
	v_mul_f64_e32 v[22:23], s[10:11], v[22:23]
	;; [unrolled: 1-line block ×4, first 2 shown]
	v_add_f64_e32 v[8:9], v[12:13], v[8:9]
	v_add_f64_e32 v[10:11], v[14:15], v[10:11]
	;; [unrolled: 1-line block ×3, first 2 shown]
	v_add_f64_e64 v[6:7], v[28:29], -v[30:31]
	v_mul_f64_e32 v[28:29], s[16:17], v[20:21]
	v_mul_f64_e32 v[30:31], s[10:11], v[40:41]
	v_add_f64_e32 v[0:1], v[4:5], v[18:19]
	v_mul_f64_e32 v[40:41], s[2:3], v[42:43]
	v_add_f64_e64 v[4:5], v[32:33], -v[34:35]
	v_mul_f64_e32 v[32:33], s[16:17], v[44:45]
	v_fma_f64 v[12:13], v[36:37], s[20:21], v[22:23]
	v_fma_f64 v[14:15], v[20:21], s[16:17], v[24:25]
	;; [unrolled: 1-line block ×3, first 2 shown]
	v_fma_f64 v[34:35], v[36:37], s[22:23], -v[46:47]
	v_fma_f64 v[22:23], v[38:39], s[2:3], -v[22:23]
	v_fma_f64 v[16:17], v[16:17], s[12:13], v[2:3]
	v_fma_f64 v[24:25], v[6:7], s[18:19], -v[24:25]
	v_fma_f64 v[6:7], v[6:7], s[14:15], -v[28:29]
	v_fma_f64 v[28:29], v[48:49], s[20:21], v[30:31]
	v_fma_f64 v[18:19], v[18:19], s[12:13], v[0:1]
	v_fma_f64 v[36:37], v[48:49], s[22:23], -v[40:41]
	v_fma_f64 v[26:27], v[4:5], s[18:19], -v[26:27]
	;; [unrolled: 1-line block ×4, first 2 shown]
	v_fma_f64 v[12:13], v[8:9], s[24:25], v[12:13]
	v_fma_f64 v[32:33], v[8:9], s[24:25], v[34:35]
	;; [unrolled: 1-line block ×3, first 2 shown]
	v_add_f64_e32 v[34:35], v[14:15], v[16:17]
	v_add_f64_e32 v[22:23], v[24:25], v[16:17]
	;; [unrolled: 1-line block ×3, first 2 shown]
	v_fma_f64 v[28:29], v[10:11], s[24:25], v[28:29]
	v_add_f64_e32 v[38:39], v[20:21], v[18:19]
	v_fma_f64 v[36:37], v[10:11], s[24:25], v[36:37]
	v_add_f64_e32 v[40:41], v[26:27], v[18:19]
	;; [unrolled: 2-line block ×3, first 2 shown]
	v_add_f64_e64 v[26:27], v[34:35], -v[12:13]
	v_add_f64_e32 v[10:11], v[32:33], v[22:23]
	v_add_f64_e64 v[22:23], v[22:23], -v[32:33]
	v_add_f64_e64 v[14:15], v[16:17], -v[8:9]
	v_add_f64_e32 v[24:25], v[28:29], v[38:39]
	v_add_f64_e32 v[18:19], v[8:9], v[16:17]
	;; [unrolled: 1-line block ×4, first 2 shown]
	v_add_f64_e64 v[16:17], v[4:5], -v[30:31]
	v_add_f64_e32 v[12:13], v[30:31], v[4:5]
	v_add_f64_e64 v[8:9], v[40:41], -v[36:37]
	v_add_f64_e64 v[4:5], v[38:39], -v[28:29]
	v_lshl_add_u32 v28, v65, 4, 0
	ds_store_b128 v28, v[0:3] offset:25872
	ds_store_b128 v28, v[24:27] offset:26400
	;; [unrolled: 1-line block ×7, first 2 shown]
.LBB0_23:
	s_wait_alu 0xfffe
	s_or_b32 exec_lo, exec_lo, s1
	v_mul_u32_u24_e32 v0, 3, v68
	global_wb scope:SCOPE_SE
	s_wait_dscnt 0x0
	s_barrier_signal -1
	s_barrier_wait -1
	global_inv scope:SCOPE_SE
	v_dual_mov_b32 v69, 0 :: v_dual_lshlrev_b32 v8, 4, v0
	v_lshl_add_u32 v18, v74, 4, 0
	s_clause 0x2
	global_load_b128 v[0:3], v8, s[4:5] offset:3648
	global_load_b128 v[4:7], v8, s[4:5] offset:3664
	;; [unrolled: 1-line block ×3, first 2 shown]
	ds_load_b128 v[12:15], v18
	ds_load_b128 v[19:22], v187 offset:14784
	ds_load_b128 v[23:26], v187 offset:22176
	;; [unrolled: 1-line block ×5, first 2 shown]
	v_mov_b32_e32 v73, v69
	v_mov_b32_e32 v75, v69
	s_wait_loadcnt_dscnt 0x205
	v_mul_f64_e32 v[16:17], v[14:15], v[2:3]
	v_mul_f64_e32 v[39:40], v[12:13], v[2:3]
	s_wait_loadcnt_dscnt 0x104
	v_mul_f64_e32 v[41:42], v[21:22], v[6:7]
	v_mul_f64_e32 v[43:44], v[19:20], v[6:7]
	s_wait_loadcnt_dscnt 0x3
	v_mul_f64_e32 v[45:46], v[25:26], v[10:11]
	v_mul_f64_e32 v[47:48], v[23:24], v[10:11]
	s_wait_dscnt 0x2
	v_mul_f64_e32 v[49:50], v[29:30], v[2:3]
	v_mul_f64_e32 v[2:3], v[27:28], v[2:3]
	s_wait_dscnt 0x1
	v_mul_f64_e32 v[51:52], v[33:34], v[6:7]
	v_mul_f64_e32 v[6:7], v[31:32], v[6:7]
	;; [unrolled: 3-line block ×3, first 2 shown]
	v_fma_f64 v[12:13], v[12:13], v[0:1], v[16:17]
	v_fma_f64 v[14:15], v[14:15], v[0:1], -v[39:40]
	v_fma_f64 v[16:17], v[19:20], v[4:5], v[41:42]
	v_fma_f64 v[19:20], v[21:22], v[4:5], -v[43:44]
	;; [unrolled: 2-line block ×6, first 2 shown]
	ds_load_b128 v[0:3], v187
	ds_load_b128 v[4:7], v56
	global_wb scope:SCOPE_SE
	s_wait_dscnt 0x0
	s_barrier_signal -1
	s_barrier_wait -1
	global_inv scope:SCOPE_SE
	v_add_f64_e64 v[10:11], v[0:1], -v[16:17]
	v_add_f64_e64 v[35:36], v[2:3], -v[19:20]
	;; [unrolled: 1-line block ×8, first 2 shown]
	v_fma_f64 v[0:1], v[0:1], 2.0, -v[10:11]
	v_fma_f64 v[2:3], v[2:3], 2.0, -v[35:36]
	;; [unrolled: 1-line block ×8, first 2 shown]
	v_add_f64_e32 v[4:5], v[10:11], v[19:20]
	v_add_f64_e64 v[6:7], v[35:36], -v[16:17]
	v_add_f64_e32 v[14:15], v[37:38], v[8:9]
	v_add_f64_e64 v[16:17], v[43:44], -v[29:30]
	v_lshlrev_b64_e32 v[8:9], 4, v[68:69]
	v_add_f64_e64 v[19:20], v[0:1], -v[12:13]
	v_add_f64_e64 v[21:22], v[2:3], -v[21:22]
	;; [unrolled: 1-line block ×4, first 2 shown]
	v_fma_f64 v[27:28], v[10:11], 2.0, -v[4:5]
	v_fma_f64 v[29:30], v[35:36], 2.0, -v[6:7]
	;; [unrolled: 1-line block ×3, first 2 shown]
	v_lshlrev_b64_e32 v[10:11], 4, v[74:75]
	v_fma_f64 v[35:36], v[0:1], 2.0, -v[19:20]
	v_fma_f64 v[37:38], v[2:3], 2.0, -v[21:22]
	v_lshlrev_b64_e32 v[0:1], 4, v[72:73]
	v_add_co_u32 v2, s0, s4, v8
	s_wait_alu 0xf1ff
	v_add_co_ci_u32_e64 v3, s0, s5, v9, s0
	v_fma_f64 v[39:40], v[33:34], 2.0, -v[23:24]
	v_fma_f64 v[41:42], v[41:42], 2.0, -v[25:26]
	;; [unrolled: 1-line block ×3, first 2 shown]
	v_add_co_u32 v12, s0, s4, v0
	s_wait_alu 0xf1ff
	v_add_co_ci_u32_e64 v13, s0, s5, v1, s0
	v_add_co_u32 v10, s0, s4, v10
	s_wait_alu 0xf1ff
	v_add_co_ci_u32_e64 v11, s0, s5, v11, s0
	v_cmp_ne_u32_e64 s0, 0, v68
	ds_store_b128 v187, v[19:22] offset:7392
	ds_store_b128 v187, v[4:7] offset:11088
	;; [unrolled: 1-line block ×4, first 2 shown]
	ds_store_b128 v187, v[35:38]
	ds_store_b128 v187, v[27:30] offset:3696
	ds_store_b128 v187, v[39:42] offset:14784
	;; [unrolled: 1-line block ×3, first 2 shown]
	global_wb scope:SCOPE_SE
	s_wait_dscnt 0x0
	s_barrier_signal -1
	s_barrier_wait -1
	global_inv scope:SCOPE_SE
	s_clause 0x3
	global_load_b128 v[4:7], v[2:3], off offset:14736
	global_load_b128 v[14:17], v[12:13], off offset:14736
	;; [unrolled: 1-line block ×4, first 2 shown]
	ds_load_b128 v[27:30], v187 offset:14784
	ds_load_b128 v[31:34], v187 offset:18480
	;; [unrolled: 1-line block ×5, first 2 shown]
	s_wait_loadcnt_dscnt 0x304
	v_mul_f64_e32 v[0:1], v[29:30], v[6:7]
	v_mul_f64_e32 v[6:7], v[27:28], v[6:7]
	s_wait_loadcnt_dscnt 0x203
	v_mul_f64_e32 v[47:48], v[33:34], v[16:17]
	v_mul_f64_e32 v[16:17], v[31:32], v[16:17]
	;; [unrolled: 3-line block ×4, first 2 shown]
	v_fma_f64 v[0:1], v[27:28], v[4:5], v[0:1]
	v_fma_f64 v[27:28], v[29:30], v[4:5], -v[6:7]
	v_fma_f64 v[29:30], v[31:32], v[14:15], v[47:48]
	v_fma_f64 v[31:32], v[33:34], v[14:15], -v[16:17]
	;; [unrolled: 2-line block ×4, first 2 shown]
	ds_load_b128 v[4:7], v187
	ds_load_b128 v[14:17], v56
	;; [unrolled: 1-line block ×3, first 2 shown]
	global_wb scope:SCOPE_SE
	s_wait_dscnt 0x0
	s_barrier_signal -1
	s_barrier_wait -1
	global_inv scope:SCOPE_SE
	v_add_f64_e64 v[23:24], v[4:5], -v[0:1]
	v_lshlrev_b32_e32 v0, 4, v68
	v_add_f64_e64 v[25:26], v[6:7], -v[27:28]
	v_add_f64_e64 v[27:28], v[14:15], -v[29:30]
	;; [unrolled: 1-line block ×7, first 2 shown]
	v_fma_f64 v[4:5], v[4:5], 2.0, -v[23:24]
	v_fma_f64 v[6:7], v[6:7], 2.0, -v[25:26]
	;; [unrolled: 1-line block ×8, first 2 shown]
	ds_store_b128 v187, v[4:7]
	ds_store_b128 v187, v[23:26] offset:14784
	ds_store_b128 v56, v[14:17]
	ds_store_b128 v56, v[27:30] offset:14784
	;; [unrolled: 2-line block ×3, first 2 shown]
	ds_store_b128 v187, v[39:42] offset:11088
	ds_store_b128 v187, v[35:38] offset:25872
	global_wb scope:SCOPE_SE
	s_wait_dscnt 0x0
	s_barrier_signal -1
	s_barrier_wait -1
	global_inv scope:SCOPE_SE
	ds_load_b128 v[4:7], v187
	v_sub_nc_u32_e32 v19, 0, v0
                                        ; implicit-def: $vgpr0_vgpr1
                                        ; implicit-def: $vgpr14_vgpr15
                                        ; implicit-def: $vgpr16_vgpr17
	s_and_saveexec_b32 s1, s0
	s_wait_alu 0xfffe
	s_xor_b32 s0, exec_lo, s1
	s_cbranch_execz .LBB0_25
; %bb.24:
	global_load_b128 v[20:23], v[2:3], off offset:29520
	ds_load_b128 v[0:3], v19 offset:29568
	s_wait_dscnt 0x0
	v_add_f64_e64 v[14:15], v[4:5], -v[0:1]
	v_add_f64_e32 v[16:17], v[6:7], v[2:3]
	v_add_f64_e64 v[2:3], v[6:7], -v[2:3]
	v_add_f64_e32 v[0:1], v[4:5], v[0:1]
	s_delay_alu instid0(VALU_DEP_4) | instskip(NEXT) | instid1(VALU_DEP_4)
	v_mul_f64_e32 v[6:7], 0.5, v[14:15]
	v_mul_f64_e32 v[4:5], 0.5, v[16:17]
	s_delay_alu instid0(VALU_DEP_4) | instskip(SKIP_1) | instid1(VALU_DEP_3)
	v_mul_f64_e32 v[2:3], 0.5, v[2:3]
	s_wait_loadcnt 0x0
	v_mul_f64_e32 v[14:15], v[6:7], v[22:23]
	s_delay_alu instid0(VALU_DEP_2) | instskip(SKIP_1) | instid1(VALU_DEP_3)
	v_fma_f64 v[16:17], v[4:5], v[22:23], v[2:3]
	v_fma_f64 v[2:3], v[4:5], v[22:23], -v[2:3]
	v_fma_f64 v[24:25], v[0:1], 0.5, v[14:15]
	v_fma_f64 v[0:1], v[0:1], 0.5, -v[14:15]
	s_delay_alu instid0(VALU_DEP_4) | instskip(NEXT) | instid1(VALU_DEP_4)
	v_fma_f64 v[16:17], -v[20:21], v[6:7], v[16:17]
	v_fma_f64 v[2:3], -v[20:21], v[6:7], v[2:3]
	s_delay_alu instid0(VALU_DEP_4) | instskip(NEXT) | instid1(VALU_DEP_4)
	v_fma_f64 v[14:15], v[4:5], v[20:21], v[24:25]
	v_fma_f64 v[0:1], -v[4:5], v[20:21], v[0:1]
                                        ; implicit-def: $vgpr4_vgpr5
.LBB0_25:
	s_wait_alu 0xfffe
	s_and_not1_saveexec_b32 s0, s0
	s_cbranch_execz .LBB0_27
; %bb.26:
	s_wait_dscnt 0x0
	v_add_f64_e32 v[14:15], v[4:5], v[6:7]
	v_add_f64_e64 v[0:1], v[4:5], -v[6:7]
	v_mov_b32_e32 v6, 0
	v_mov_b32_e32 v16, 0
	v_mov_b32_e32 v17, 0
	s_delay_alu instid0(VALU_DEP_2)
	v_mov_b32_e32 v2, v16
	ds_load_b64 v[4:5], v6 offset:14792
	v_mov_b32_e32 v3, v17
	s_wait_dscnt 0x0
	v_xor_b32_e32 v5, 0x80000000, v5
	ds_store_b64 v6, v[4:5] offset:14792
.LBB0_27:
	s_wait_alu 0xfffe
	s_or_b32 exec_lo, exec_lo, s0
	s_wait_dscnt 0x0
	s_clause 0x1
	global_load_b128 v[4:7], v[12:13], off offset:29520
	global_load_b128 v[10:13], v[10:11], off offset:29520
	ds_store_2addr_b64 v187, v[14:15], v[16:17] offset1:1
	ds_store_b128 v19, v[0:3] offset:29568
	ds_load_b128 v[0:3], v56
	ds_load_b128 v[14:17], v19 offset:25872
	s_add_nc_u64 s[0:1], s[4:5], 0x7350
	s_wait_dscnt 0x0
	v_add_f64_e64 v[20:21], v[0:1], -v[14:15]
	v_add_f64_e32 v[22:23], v[2:3], v[16:17]
	v_add_f64_e64 v[2:3], v[2:3], -v[16:17]
	v_add_f64_e32 v[0:1], v[0:1], v[14:15]
	s_delay_alu instid0(VALU_DEP_4) | instskip(NEXT) | instid1(VALU_DEP_4)
	v_mul_f64_e32 v[16:17], 0.5, v[20:21]
	v_mul_f64_e32 v[20:21], 0.5, v[22:23]
	s_delay_alu instid0(VALU_DEP_4) | instskip(SKIP_1) | instid1(VALU_DEP_3)
	v_mul_f64_e32 v[2:3], 0.5, v[2:3]
	s_wait_loadcnt 0x1
	v_mul_f64_e32 v[14:15], v[16:17], v[6:7]
	s_delay_alu instid0(VALU_DEP_2) | instskip(SKIP_1) | instid1(VALU_DEP_3)
	v_fma_f64 v[22:23], v[20:21], v[6:7], v[2:3]
	v_fma_f64 v[2:3], v[20:21], v[6:7], -v[2:3]
	v_fma_f64 v[6:7], v[0:1], 0.5, v[14:15]
	v_fma_f64 v[0:1], v[0:1], 0.5, -v[14:15]
	s_delay_alu instid0(VALU_DEP_4) | instskip(NEXT) | instid1(VALU_DEP_4)
	v_fma_f64 v[14:15], -v[4:5], v[16:17], v[22:23]
	v_fma_f64 v[2:3], -v[4:5], v[16:17], v[2:3]
	s_delay_alu instid0(VALU_DEP_4) | instskip(NEXT) | instid1(VALU_DEP_4)
	v_fma_f64 v[16:17], v[20:21], v[4:5], v[6:7]
	v_fma_f64 v[0:1], -v[20:21], v[4:5], v[0:1]
	s_wait_alu 0xfffe
	v_add_co_u32 v4, s0, s0, v8
	s_wait_alu 0xf1ff
	v_add_co_ci_u32_e64 v5, s0, s1, v9, s0
	global_load_b128 v[4:7], v[4:5], off offset:11088
	ds_store_2addr_b64 v56, v[16:17], v[14:15] offset1:1
	ds_store_b128 v19, v[0:3] offset:25872
	ds_load_b128 v[0:3], v18
	ds_load_b128 v[14:17], v19 offset:22176
	s_wait_dscnt 0x0
	v_add_f64_e64 v[20:21], v[0:1], -v[14:15]
	v_add_f64_e32 v[22:23], v[2:3], v[16:17]
	v_add_f64_e64 v[2:3], v[2:3], -v[16:17]
	v_add_f64_e32 v[0:1], v[0:1], v[14:15]
	s_delay_alu instid0(VALU_DEP_4) | instskip(NEXT) | instid1(VALU_DEP_4)
	v_mul_f64_e32 v[16:17], 0.5, v[20:21]
	v_mul_f64_e32 v[20:21], 0.5, v[22:23]
	s_delay_alu instid0(VALU_DEP_4) | instskip(SKIP_1) | instid1(VALU_DEP_3)
	v_mul_f64_e32 v[2:3], 0.5, v[2:3]
	s_wait_loadcnt 0x1
	v_mul_f64_e32 v[14:15], v[16:17], v[12:13]
	s_delay_alu instid0(VALU_DEP_2) | instskip(SKIP_1) | instid1(VALU_DEP_3)
	v_fma_f64 v[22:23], v[20:21], v[12:13], v[2:3]
	v_fma_f64 v[2:3], v[20:21], v[12:13], -v[2:3]
	v_fma_f64 v[12:13], v[0:1], 0.5, v[14:15]
	v_fma_f64 v[0:1], v[0:1], 0.5, -v[14:15]
	s_delay_alu instid0(VALU_DEP_4) | instskip(NEXT) | instid1(VALU_DEP_4)
	v_fma_f64 v[14:15], -v[10:11], v[16:17], v[22:23]
	v_fma_f64 v[2:3], -v[10:11], v[16:17], v[2:3]
	s_delay_alu instid0(VALU_DEP_4) | instskip(NEXT) | instid1(VALU_DEP_4)
	v_fma_f64 v[12:13], v[20:21], v[10:11], v[12:13]
	v_fma_f64 v[0:1], -v[20:21], v[10:11], v[0:1]
	ds_store_2addr_b64 v18, v[12:13], v[14:15] offset1:1
	ds_store_b128 v19, v[0:3] offset:22176
	ds_load_b128 v[0:3], v187 offset:11088
	ds_load_b128 v[10:13], v19 offset:18480
	s_wait_dscnt 0x0
	v_add_f64_e64 v[14:15], v[0:1], -v[10:11]
	v_add_f64_e32 v[16:17], v[2:3], v[12:13]
	v_add_f64_e64 v[2:3], v[2:3], -v[12:13]
	v_add_f64_e32 v[0:1], v[0:1], v[10:11]
	s_delay_alu instid0(VALU_DEP_4) | instskip(NEXT) | instid1(VALU_DEP_4)
	v_mul_f64_e32 v[12:13], 0.5, v[14:15]
	v_mul_f64_e32 v[14:15], 0.5, v[16:17]
	s_delay_alu instid0(VALU_DEP_4) | instskip(SKIP_1) | instid1(VALU_DEP_3)
	v_mul_f64_e32 v[2:3], 0.5, v[2:3]
	s_wait_loadcnt 0x0
	v_mul_f64_e32 v[10:11], v[12:13], v[6:7]
	s_delay_alu instid0(VALU_DEP_2) | instskip(SKIP_1) | instid1(VALU_DEP_3)
	v_fma_f64 v[16:17], v[14:15], v[6:7], v[2:3]
	v_fma_f64 v[2:3], v[14:15], v[6:7], -v[2:3]
	v_fma_f64 v[6:7], v[0:1], 0.5, v[10:11]
	v_fma_f64 v[0:1], v[0:1], 0.5, -v[10:11]
	s_delay_alu instid0(VALU_DEP_4) | instskip(NEXT) | instid1(VALU_DEP_4)
	v_fma_f64 v[10:11], -v[4:5], v[12:13], v[16:17]
	v_fma_f64 v[2:3], -v[4:5], v[12:13], v[2:3]
	s_delay_alu instid0(VALU_DEP_4) | instskip(NEXT) | instid1(VALU_DEP_4)
	v_fma_f64 v[6:7], v[14:15], v[4:5], v[6:7]
	v_fma_f64 v[0:1], -v[14:15], v[4:5], v[0:1]
	v_add_nc_u32_e32 v4, 0x2800, v187
	ds_store_2addr_b64 v4, v[6:7], v[10:11] offset0:106 offset1:107
	ds_store_b128 v19, v[0:3] offset:18480
	global_wb scope:SCOPE_SE
	s_wait_dscnt 0x0
	s_barrier_signal -1
	s_barrier_wait -1
	global_inv scope:SCOPE_SE
	s_and_saveexec_b32 s0, vcc_lo
	s_cbranch_execz .LBB0_30
; %bb.28:
	ds_load_b128 v[2:5], v187
	ds_load_b128 v[10:13], v187 offset:3696
	ds_load_b128 v[14:17], v187 offset:7392
	;; [unrolled: 1-line block ×7, first 2 shown]
	v_add_co_u32 v0, vcc_lo, s8, v70
	s_wait_alu 0xfffd
	v_add_co_ci_u32_e32 v1, vcc_lo, s9, v71, vcc_lo
	s_delay_alu instid0(VALU_DEP_2) | instskip(SKIP_1) | instid1(VALU_DEP_2)
	v_add_co_u32 v6, vcc_lo, v0, v8
	s_wait_alu 0xfffd
	v_add_co_ci_u32_e32 v7, vcc_lo, v1, v9, vcc_lo
	v_cmp_eq_u32_e32 vcc_lo, 0xe6, v68
	s_wait_dscnt 0x7
	global_store_b128 v[6:7], v[2:5], off
	s_wait_dscnt 0x6
	global_store_b128 v[6:7], v[10:13], off offset:3696
	s_wait_dscnt 0x5
	global_store_b128 v[6:7], v[14:17], off offset:7392
	;; [unrolled: 2-line block ×7, first 2 shown]
	s_and_b32 exec_lo, exec_lo, vcc_lo
	s_cbranch_execz .LBB0_30
; %bb.29:
	v_mov_b32_e32 v2, 0
	ds_load_b128 v[2:5], v2 offset:29568
	s_wait_dscnt 0x0
	global_store_b128 v[0:1], v[2:5], off offset:29568
.LBB0_30:
	s_nop 0
	s_sendmsg sendmsg(MSG_DEALLOC_VGPRS)
	s_endpgm
	.section	.rodata,"a",@progbits
	.p2align	6, 0x0
	.amdhsa_kernel fft_rtc_back_len1848_factors_3_11_7_4_2_wgs_231_tpt_231_halfLds_dp_ip_CI_unitstride_sbrr_R2C_dirReg
		.amdhsa_group_segment_fixed_size 0
		.amdhsa_private_segment_fixed_size 0
		.amdhsa_kernarg_size 88
		.amdhsa_user_sgpr_count 2
		.amdhsa_user_sgpr_dispatch_ptr 0
		.amdhsa_user_sgpr_queue_ptr 0
		.amdhsa_user_sgpr_kernarg_segment_ptr 1
		.amdhsa_user_sgpr_dispatch_id 0
		.amdhsa_user_sgpr_private_segment_size 0
		.amdhsa_wavefront_size32 1
		.amdhsa_uses_dynamic_stack 0
		.amdhsa_enable_private_segment 0
		.amdhsa_system_sgpr_workgroup_id_x 1
		.amdhsa_system_sgpr_workgroup_id_y 0
		.amdhsa_system_sgpr_workgroup_id_z 0
		.amdhsa_system_sgpr_workgroup_info 0
		.amdhsa_system_vgpr_workitem_id 0
		.amdhsa_next_free_vgpr 215
		.amdhsa_next_free_sgpr 36
		.amdhsa_reserve_vcc 1
		.amdhsa_float_round_mode_32 0
		.amdhsa_float_round_mode_16_64 0
		.amdhsa_float_denorm_mode_32 3
		.amdhsa_float_denorm_mode_16_64 3
		.amdhsa_fp16_overflow 0
		.amdhsa_workgroup_processor_mode 1
		.amdhsa_memory_ordered 1
		.amdhsa_forward_progress 0
		.amdhsa_round_robin_scheduling 0
		.amdhsa_exception_fp_ieee_invalid_op 0
		.amdhsa_exception_fp_denorm_src 0
		.amdhsa_exception_fp_ieee_div_zero 0
		.amdhsa_exception_fp_ieee_overflow 0
		.amdhsa_exception_fp_ieee_underflow 0
		.amdhsa_exception_fp_ieee_inexact 0
		.amdhsa_exception_int_div_zero 0
	.end_amdhsa_kernel
	.text
.Lfunc_end0:
	.size	fft_rtc_back_len1848_factors_3_11_7_4_2_wgs_231_tpt_231_halfLds_dp_ip_CI_unitstride_sbrr_R2C_dirReg, .Lfunc_end0-fft_rtc_back_len1848_factors_3_11_7_4_2_wgs_231_tpt_231_halfLds_dp_ip_CI_unitstride_sbrr_R2C_dirReg
                                        ; -- End function
	.section	.AMDGPU.csdata,"",@progbits
; Kernel info:
; codeLenInByte = 9428
; NumSgprs: 38
; NumVgprs: 215
; ScratchSize: 0
; MemoryBound: 0
; FloatMode: 240
; IeeeMode: 1
; LDSByteSize: 0 bytes/workgroup (compile time only)
; SGPRBlocks: 4
; VGPRBlocks: 26
; NumSGPRsForWavesPerEU: 38
; NumVGPRsForWavesPerEU: 215
; Occupancy: 7
; WaveLimiterHint : 1
; COMPUTE_PGM_RSRC2:SCRATCH_EN: 0
; COMPUTE_PGM_RSRC2:USER_SGPR: 2
; COMPUTE_PGM_RSRC2:TRAP_HANDLER: 0
; COMPUTE_PGM_RSRC2:TGID_X_EN: 1
; COMPUTE_PGM_RSRC2:TGID_Y_EN: 0
; COMPUTE_PGM_RSRC2:TGID_Z_EN: 0
; COMPUTE_PGM_RSRC2:TIDIG_COMP_CNT: 0
	.text
	.p2alignl 7, 3214868480
	.fill 96, 4, 3214868480
	.type	__hip_cuid_bb4c383d764c97ee,@object ; @__hip_cuid_bb4c383d764c97ee
	.section	.bss,"aw",@nobits
	.globl	__hip_cuid_bb4c383d764c97ee
__hip_cuid_bb4c383d764c97ee:
	.byte	0                               ; 0x0
	.size	__hip_cuid_bb4c383d764c97ee, 1

	.ident	"AMD clang version 19.0.0git (https://github.com/RadeonOpenCompute/llvm-project roc-6.4.0 25133 c7fe45cf4b819c5991fe208aaa96edf142730f1d)"
	.section	".note.GNU-stack","",@progbits
	.addrsig
	.addrsig_sym __hip_cuid_bb4c383d764c97ee
	.amdgpu_metadata
---
amdhsa.kernels:
  - .args:
      - .actual_access:  read_only
        .address_space:  global
        .offset:         0
        .size:           8
        .value_kind:     global_buffer
      - .offset:         8
        .size:           8
        .value_kind:     by_value
      - .actual_access:  read_only
        .address_space:  global
        .offset:         16
        .size:           8
        .value_kind:     global_buffer
      - .actual_access:  read_only
        .address_space:  global
        .offset:         24
        .size:           8
        .value_kind:     global_buffer
      - .offset:         32
        .size:           8
        .value_kind:     by_value
      - .actual_access:  read_only
        .address_space:  global
        .offset:         40
        .size:           8
        .value_kind:     global_buffer
      - .actual_access:  read_only
        .address_space:  global
        .offset:         48
        .size:           8
        .value_kind:     global_buffer
      - .offset:         56
        .size:           4
        .value_kind:     by_value
      - .actual_access:  read_only
        .address_space:  global
        .offset:         64
        .size:           8
        .value_kind:     global_buffer
      - .actual_access:  read_only
        .address_space:  global
        .offset:         72
        .size:           8
        .value_kind:     global_buffer
      - .address_space:  global
        .offset:         80
        .size:           8
        .value_kind:     global_buffer
    .group_segment_fixed_size: 0
    .kernarg_segment_align: 8
    .kernarg_segment_size: 88
    .language:       OpenCL C
    .language_version:
      - 2
      - 0
    .max_flat_workgroup_size: 231
    .name:           fft_rtc_back_len1848_factors_3_11_7_4_2_wgs_231_tpt_231_halfLds_dp_ip_CI_unitstride_sbrr_R2C_dirReg
    .private_segment_fixed_size: 0
    .sgpr_count:     38
    .sgpr_spill_count: 0
    .symbol:         fft_rtc_back_len1848_factors_3_11_7_4_2_wgs_231_tpt_231_halfLds_dp_ip_CI_unitstride_sbrr_R2C_dirReg.kd
    .uniform_work_group_size: 1
    .uses_dynamic_stack: false
    .vgpr_count:     215
    .vgpr_spill_count: 0
    .wavefront_size: 32
    .workgroup_processor_mode: 1
amdhsa.target:   amdgcn-amd-amdhsa--gfx1201
amdhsa.version:
  - 1
  - 2
...

	.end_amdgpu_metadata
